;; amdgpu-corpus repo=ROCm/rocFFT kind=compiled arch=gfx1030 opt=O3
	.text
	.amdgcn_target "amdgcn-amd-amdhsa--gfx1030"
	.amdhsa_code_object_version 6
	.protected	fft_rtc_fwd_len735_factors_7_3_5_7_wgs_147_tpt_147_dp_op_CI_CI_sbrr_dirReg ; -- Begin function fft_rtc_fwd_len735_factors_7_3_5_7_wgs_147_tpt_147_dp_op_CI_CI_sbrr_dirReg
	.globl	fft_rtc_fwd_len735_factors_7_3_5_7_wgs_147_tpt_147_dp_op_CI_CI_sbrr_dirReg
	.p2align	8
	.type	fft_rtc_fwd_len735_factors_7_3_5_7_wgs_147_tpt_147_dp_op_CI_CI_sbrr_dirReg,@function
fft_rtc_fwd_len735_factors_7_3_5_7_wgs_147_tpt_147_dp_op_CI_CI_sbrr_dirReg: ; @fft_rtc_fwd_len735_factors_7_3_5_7_wgs_147_tpt_147_dp_op_CI_CI_sbrr_dirReg
; %bb.0:
	s_clause 0x2
	s_load_dwordx4 s[16:19], s[4:5], 0x18
	s_load_dwordx4 s[12:15], s[4:5], 0x0
	;; [unrolled: 1-line block ×3, first 2 shown]
	v_mul_u32_u24_e32 v2, 0x1be, v0
	v_mov_b32_e32 v1, 0
	v_mov_b32_e32 v4, 0
	;; [unrolled: 1-line block ×3, first 2 shown]
	s_waitcnt lgkmcnt(0)
	s_load_dwordx2 s[20:21], s[16:17], 0x0
	s_load_dwordx2 s[2:3], s[18:19], 0x0
	v_cmp_lt_u64_e64 s0, s[14:15], 2
	v_add_nc_u32_sdwa v6, s6, v2 dst_sel:DWORD dst_unused:UNUSED_PAD src0_sel:DWORD src1_sel:WORD_1
	v_mov_b32_e32 v7, v1
	s_and_b32 vcc_lo, exec_lo, s0
	s_cbranch_vccnz .LBB0_8
; %bb.1:
	s_load_dwordx2 s[0:1], s[4:5], 0x10
	v_mov_b32_e32 v4, 0
	v_mov_b32_e32 v5, 0
	s_add_u32 s6, s18, 8
	s_addc_u32 s7, s19, 0
	s_add_u32 s22, s16, 8
	s_addc_u32 s23, s17, 0
	v_mov_b32_e32 v29, v5
	v_mov_b32_e32 v28, v4
	s_mov_b64 s[26:27], 1
	s_waitcnt lgkmcnt(0)
	s_add_u32 s24, s0, 8
	s_addc_u32 s25, s1, 0
.LBB0_2:                                ; =>This Inner Loop Header: Depth=1
	s_load_dwordx2 s[28:29], s[24:25], 0x0
                                        ; implicit-def: $vgpr30_vgpr31
	s_mov_b32 s0, exec_lo
	s_waitcnt lgkmcnt(0)
	v_or_b32_e32 v2, s29, v7
	v_cmpx_ne_u64_e32 0, v[1:2]
	s_xor_b32 s1, exec_lo, s0
	s_cbranch_execz .LBB0_4
; %bb.3:                                ;   in Loop: Header=BB0_2 Depth=1
	v_cvt_f32_u32_e32 v2, s28
	v_cvt_f32_u32_e32 v3, s29
	s_sub_u32 s0, 0, s28
	s_subb_u32 s30, 0, s29
	v_fmac_f32_e32 v2, 0x4f800000, v3
	v_rcp_f32_e32 v2, v2
	v_mul_f32_e32 v2, 0x5f7ffffc, v2
	v_mul_f32_e32 v3, 0x2f800000, v2
	v_trunc_f32_e32 v3, v3
	v_fmac_f32_e32 v2, 0xcf800000, v3
	v_cvt_u32_f32_e32 v3, v3
	v_cvt_u32_f32_e32 v2, v2
	v_mul_lo_u32 v8, s0, v3
	v_mul_hi_u32 v9, s0, v2
	v_mul_lo_u32 v10, s30, v2
	v_add_nc_u32_e32 v8, v9, v8
	v_mul_lo_u32 v9, s0, v2
	v_add_nc_u32_e32 v8, v8, v10
	v_mul_hi_u32 v10, v2, v9
	v_mul_lo_u32 v11, v2, v8
	v_mul_hi_u32 v12, v2, v8
	v_mul_hi_u32 v13, v3, v9
	v_mul_lo_u32 v9, v3, v9
	v_mul_hi_u32 v14, v3, v8
	v_mul_lo_u32 v8, v3, v8
	v_add_co_u32 v10, vcc_lo, v10, v11
	v_add_co_ci_u32_e32 v11, vcc_lo, 0, v12, vcc_lo
	v_add_co_u32 v9, vcc_lo, v10, v9
	v_add_co_ci_u32_e32 v9, vcc_lo, v11, v13, vcc_lo
	v_add_co_ci_u32_e32 v10, vcc_lo, 0, v14, vcc_lo
	v_add_co_u32 v8, vcc_lo, v9, v8
	v_add_co_ci_u32_e32 v9, vcc_lo, 0, v10, vcc_lo
	v_add_co_u32 v2, vcc_lo, v2, v8
	v_add_co_ci_u32_e32 v3, vcc_lo, v3, v9, vcc_lo
	v_mul_hi_u32 v8, s0, v2
	v_mul_lo_u32 v10, s30, v2
	v_mul_lo_u32 v9, s0, v3
	v_add_nc_u32_e32 v8, v8, v9
	v_mul_lo_u32 v9, s0, v2
	v_add_nc_u32_e32 v8, v8, v10
	v_mul_hi_u32 v10, v2, v9
	v_mul_lo_u32 v11, v2, v8
	v_mul_hi_u32 v12, v2, v8
	v_mul_hi_u32 v13, v3, v9
	v_mul_lo_u32 v9, v3, v9
	v_mul_hi_u32 v14, v3, v8
	v_mul_lo_u32 v8, v3, v8
	v_add_co_u32 v10, vcc_lo, v10, v11
	v_add_co_ci_u32_e32 v11, vcc_lo, 0, v12, vcc_lo
	v_add_co_u32 v9, vcc_lo, v10, v9
	v_add_co_ci_u32_e32 v9, vcc_lo, v11, v13, vcc_lo
	v_add_co_ci_u32_e32 v10, vcc_lo, 0, v14, vcc_lo
	v_add_co_u32 v8, vcc_lo, v9, v8
	v_add_co_ci_u32_e32 v9, vcc_lo, 0, v10, vcc_lo
	v_add_co_u32 v8, vcc_lo, v2, v8
	v_add_co_ci_u32_e32 v10, vcc_lo, v3, v9, vcc_lo
	v_mul_hi_u32 v12, v6, v8
	v_mad_u64_u32 v[8:9], null, v7, v8, 0
	v_mad_u64_u32 v[2:3], null, v6, v10, 0
	v_mad_u64_u32 v[10:11], null, v7, v10, 0
	v_add_co_u32 v2, vcc_lo, v12, v2
	v_add_co_ci_u32_e32 v3, vcc_lo, 0, v3, vcc_lo
	v_add_co_u32 v2, vcc_lo, v2, v8
	v_add_co_ci_u32_e32 v2, vcc_lo, v3, v9, vcc_lo
	v_add_co_ci_u32_e32 v3, vcc_lo, 0, v11, vcc_lo
	v_add_co_u32 v8, vcc_lo, v2, v10
	v_add_co_ci_u32_e32 v9, vcc_lo, 0, v3, vcc_lo
	v_mul_lo_u32 v10, s29, v8
	v_mad_u64_u32 v[2:3], null, s28, v8, 0
	v_mul_lo_u32 v11, s28, v9
	v_sub_co_u32 v2, vcc_lo, v6, v2
	v_add3_u32 v3, v3, v11, v10
	v_sub_nc_u32_e32 v10, v7, v3
	v_subrev_co_ci_u32_e64 v10, s0, s29, v10, vcc_lo
	v_add_co_u32 v11, s0, v8, 2
	v_add_co_ci_u32_e64 v12, s0, 0, v9, s0
	v_sub_co_u32 v13, s0, v2, s28
	v_sub_co_ci_u32_e32 v3, vcc_lo, v7, v3, vcc_lo
	v_subrev_co_ci_u32_e64 v10, s0, 0, v10, s0
	v_cmp_le_u32_e32 vcc_lo, s28, v13
	v_cmp_eq_u32_e64 s0, s29, v3
	v_cndmask_b32_e64 v13, 0, -1, vcc_lo
	v_cmp_le_u32_e32 vcc_lo, s29, v10
	v_cndmask_b32_e64 v14, 0, -1, vcc_lo
	v_cmp_le_u32_e32 vcc_lo, s28, v2
	;; [unrolled: 2-line block ×3, first 2 shown]
	v_cndmask_b32_e64 v15, 0, -1, vcc_lo
	v_cmp_eq_u32_e32 vcc_lo, s29, v10
	v_cndmask_b32_e64 v2, v15, v2, s0
	v_cndmask_b32_e32 v10, v14, v13, vcc_lo
	v_add_co_u32 v13, vcc_lo, v8, 1
	v_add_co_ci_u32_e32 v14, vcc_lo, 0, v9, vcc_lo
	v_cmp_ne_u32_e32 vcc_lo, 0, v10
	v_cndmask_b32_e32 v3, v14, v12, vcc_lo
	v_cndmask_b32_e32 v10, v13, v11, vcc_lo
	v_cmp_ne_u32_e32 vcc_lo, 0, v2
	v_cndmask_b32_e32 v31, v9, v3, vcc_lo
	v_cndmask_b32_e32 v30, v8, v10, vcc_lo
.LBB0_4:                                ;   in Loop: Header=BB0_2 Depth=1
	s_andn2_saveexec_b32 s0, s1
	s_cbranch_execz .LBB0_6
; %bb.5:                                ;   in Loop: Header=BB0_2 Depth=1
	v_cvt_f32_u32_e32 v2, s28
	s_sub_i32 s1, 0, s28
	v_mov_b32_e32 v31, v1
	v_rcp_iflag_f32_e32 v2, v2
	v_mul_f32_e32 v2, 0x4f7ffffe, v2
	v_cvt_u32_f32_e32 v2, v2
	v_mul_lo_u32 v3, s1, v2
	v_mul_hi_u32 v3, v2, v3
	v_add_nc_u32_e32 v2, v2, v3
	v_mul_hi_u32 v2, v6, v2
	v_mul_lo_u32 v3, v2, s28
	v_add_nc_u32_e32 v8, 1, v2
	v_sub_nc_u32_e32 v3, v6, v3
	v_subrev_nc_u32_e32 v9, s28, v3
	v_cmp_le_u32_e32 vcc_lo, s28, v3
	v_cndmask_b32_e32 v3, v3, v9, vcc_lo
	v_cndmask_b32_e32 v2, v2, v8, vcc_lo
	v_cmp_le_u32_e32 vcc_lo, s28, v3
	v_add_nc_u32_e32 v8, 1, v2
	v_cndmask_b32_e32 v30, v2, v8, vcc_lo
.LBB0_6:                                ;   in Loop: Header=BB0_2 Depth=1
	s_or_b32 exec_lo, exec_lo, s0
	v_mul_lo_u32 v8, v31, s28
	v_mul_lo_u32 v9, v30, s29
	s_load_dwordx2 s[0:1], s[22:23], 0x0
	v_mad_u64_u32 v[2:3], null, v30, s28, 0
	s_load_dwordx2 s[28:29], s[6:7], 0x0
	s_add_u32 s26, s26, 1
	s_addc_u32 s27, s27, 0
	s_add_u32 s6, s6, 8
	s_addc_u32 s7, s7, 0
	s_add_u32 s22, s22, 8
	v_add3_u32 v3, v3, v9, v8
	v_sub_co_u32 v2, vcc_lo, v6, v2
	s_addc_u32 s23, s23, 0
	s_add_u32 s24, s24, 8
	v_sub_co_ci_u32_e32 v3, vcc_lo, v7, v3, vcc_lo
	s_addc_u32 s25, s25, 0
	s_waitcnt lgkmcnt(0)
	v_mul_lo_u32 v6, s0, v3
	v_mul_lo_u32 v7, s1, v2
	v_mad_u64_u32 v[4:5], null, s0, v2, v[4:5]
	v_mul_lo_u32 v3, s28, v3
	v_mul_lo_u32 v8, s29, v2
	v_mad_u64_u32 v[28:29], null, s28, v2, v[28:29]
	v_cmp_ge_u64_e64 s0, s[26:27], s[14:15]
	v_add3_u32 v5, v7, v5, v6
	v_add3_u32 v29, v8, v29, v3
	s_and_b32 vcc_lo, exec_lo, s0
	s_cbranch_vccnz .LBB0_9
; %bb.7:                                ;   in Loop: Header=BB0_2 Depth=1
	v_mov_b32_e32 v6, v30
	v_mov_b32_e32 v7, v31
	s_branch .LBB0_2
.LBB0_8:
	v_mov_b32_e32 v29, v5
	v_mov_b32_e32 v31, v7
	;; [unrolled: 1-line block ×4, first 2 shown]
.LBB0_9:
	s_load_dwordx2 s[0:1], s[4:5], 0x28
	v_mul_hi_u32 v1, 0x1bdd2b9, v0
	s_lshl_b64 s[6:7], s[14:15], 3
                                        ; implicit-def: $vgpr10_vgpr11
                                        ; implicit-def: $vgpr22_vgpr23
                                        ; implicit-def: $vgpr14_vgpr15
                                        ; implicit-def: $vgpr18_vgpr19
                                        ; implicit-def: $vgpr26_vgpr27
                                        ; implicit-def: $vgpr6_vgpr7
                                        ; implicit-def: $vgpr2_vgpr3
	s_add_u32 s4, s18, s6
	s_addc_u32 s5, s19, s7
	v_mul_u32_u24_e32 v1, 0x93, v1
	v_sub_nc_u32_e32 v43, v0, v1
	v_cmp_gt_u32_e32 vcc_lo, 0x69, v43
	s_waitcnt lgkmcnt(0)
	v_cmp_gt_u64_e64 s0, s[0:1], v[30:31]
	v_add_nc_u32_e32 v45, 0x69, v43
	v_add_nc_u32_e32 v44, 0xd2, v43
	;; [unrolled: 1-line block ×6, first 2 shown]
	s_and_b32 s1, s0, vcc_lo
	s_and_saveexec_b32 s14, s1
	s_cbranch_execz .LBB0_11
; %bb.10:
	s_add_u32 s6, s16, s6
	s_addc_u32 s7, s17, s7
	v_mad_u64_u32 v[0:1], null, s20, v43, 0
	s_load_dwordx2 s[6:7], s[6:7], 0x0
	v_mad_u64_u32 v[2:3], null, s20, v45, 0
	v_mad_u64_u32 v[8:9], null, s20, v44, 0
	;; [unrolled: 1-line block ×6, first 2 shown]
	v_lshlrev_b64 v[4:5], 4, v[4:5]
	v_mov_b32_e32 v1, v14
	v_mov_b32_e32 v3, v15
	s_waitcnt lgkmcnt(0)
	v_mul_lo_u32 v17, s7, v30
	v_mul_lo_u32 v18, s6, v31
	v_mad_u64_u32 v[6:7], null, s6, v30, 0
	v_mad_u64_u32 v[14:15], null, s20, v41, 0
	v_lshlrev_b64 v[0:1], 4, v[0:1]
	v_lshlrev_b64 v[2:3], 4, v[2:3]
	v_add3_u32 v7, v7, v18, v17
	v_mad_u64_u32 v[16:17], null, s21, v44, v[9:10]
	v_lshlrev_b64 v[6:7], 4, v[6:7]
	v_mov_b32_e32 v9, v16
	v_mad_u64_u32 v[16:17], null, s21, v46, v[11:12]
	v_mad_u64_u32 v[17:18], null, s21, v42, v[13:14]
	;; [unrolled: 1-line block ×3, first 2 shown]
	v_add_co_u32 v6, s0, s8, v6
	v_add_co_ci_u32_e64 v7, s0, s9, v7, s0
	v_mov_b32_e32 v11, v16
	v_mad_u64_u32 v[15:16], null, s21, v41, v[15:16]
	v_mov_b32_e32 v16, v19
	v_add_co_u32 v22, s0, v6, v4
	v_add_co_ci_u32_e64 v23, s0, v7, v5, s0
	v_mov_b32_e32 v13, v17
	v_mad_u64_u32 v[16:17], null, s21, v40, v[16:17]
	v_add_co_u32 v0, s0, v22, v0
	v_lshlrev_b64 v[8:9], 4, v[8:9]
	v_add_co_ci_u32_e64 v1, s0, v23, v1, s0
	v_add_co_u32 v4, s0, v22, v2
	v_lshlrev_b64 v[10:11], 4, v[10:11]
	v_add_co_ci_u32_e64 v5, s0, v23, v3, s0
	v_add_co_u32 v8, s0, v22, v8
	v_lshlrev_b64 v[12:13], 4, v[12:13]
	v_mov_b32_e32 v19, v16
	v_add_co_ci_u32_e64 v9, s0, v23, v9, s0
	v_add_co_u32 v10, s0, v22, v10
	v_lshlrev_b64 v[14:15], 4, v[14:15]
	v_add_co_ci_u32_e64 v11, s0, v23, v11, s0
	v_add_co_u32 v12, s0, v22, v12
	v_lshlrev_b64 v[16:17], 4, v[18:19]
	v_add_co_ci_u32_e64 v13, s0, v23, v13, s0
	v_add_co_u32 v20, s0, v22, v14
	v_add_co_ci_u32_e64 v21, s0, v23, v15, s0
	v_add_co_u32 v32, s0, v22, v16
	v_add_co_ci_u32_e64 v33, s0, v23, v17, s0
	s_clause 0x6
	global_load_dwordx4 v[0:3], v[0:1], off
	global_load_dwordx4 v[4:7], v[4:5], off
	;; [unrolled: 1-line block ×7, first 2 shown]
.LBB0_11:
	s_or_b32 exec_lo, exec_lo, s14
	s_waitcnt vmcnt(0)
	v_add_f64 v[32:33], v[8:9], v[4:5]
	v_add_f64 v[34:35], v[10:11], v[6:7]
	v_add_f64 v[36:37], v[20:21], v[24:25]
	v_add_f64 v[38:39], v[22:23], v[26:27]
	v_add_f64 v[20:21], v[24:25], -v[20:21]
	v_add_f64 v[22:23], v[26:27], -v[22:23]
	v_add_f64 v[24:25], v[12:13], v[16:17]
	v_add_f64 v[26:27], v[14:15], v[18:19]
	v_add_f64 v[12:13], v[12:13], -v[16:17]
	v_add_f64 v[14:15], v[14:15], -v[18:19]
	;; [unrolled: 1-line block ×4, first 2 shown]
	s_mov_b32 s8, 0xe976ee23
	s_mov_b32 s6, 0x36b3c0b5
	;; [unrolled: 1-line block ×10, first 2 shown]
	v_add_f64 v[16:17], v[36:37], v[32:33]
	v_add_f64 v[18:19], v[38:39], v[34:35]
	v_add_f64 v[8:9], v[24:25], -v[36:37]
	v_add_f64 v[10:11], v[26:27], -v[38:39]
	;; [unrolled: 1-line block ×6, first 2 shown]
	v_add_f64 v[20:21], v[12:13], v[20:21]
	v_add_f64 v[22:23], v[14:15], v[22:23]
	v_add_f64 v[12:13], v[4:5], -v[12:13]
	v_add_f64 v[14:15], v[6:7], -v[14:15]
	v_add_f64 v[51:52], v[24:25], v[16:17]
	v_add_f64 v[53:54], v[26:27], v[18:19]
	v_add_f64 v[24:25], v[32:33], -v[24:25]
	v_add_f64 v[26:27], v[34:35], -v[26:27]
	;; [unrolled: 1-line block ×4, first 2 shown]
	v_mul_f64 v[47:48], v[47:48], s[8:9]
	v_mul_f64 v[49:50], v[49:50], s[8:9]
	s_mov_b32 s8, 0x37e14327
	v_mul_f64 v[36:37], v[8:9], s[6:7]
	v_mul_f64 v[38:39], v[10:11], s[6:7]
	s_mov_b32 s9, 0x3fe948f6
	v_add_f64 v[4:5], v[20:21], v[4:5]
	v_add_f64 v[6:7], v[22:23], v[6:7]
	;; [unrolled: 1-line block ×4, first 2 shown]
	v_mul_f64 v[0:1], v[55:56], s[14:15]
	v_mul_f64 v[2:3], v[57:58], s[14:15]
	;; [unrolled: 1-line block ×4, first 2 shown]
	s_mov_b32 s8, 0xaaaaaaaa
	s_mov_b32 s9, 0xbff2aaaa
	v_fma_f64 v[20:21], v[12:13], s[18:19], v[47:48]
	v_fma_f64 v[36:37], v[32:33], s[16:17], -v[36:37]
	v_fma_f64 v[38:39], v[34:35], s[16:17], -v[38:39]
	s_mov_b32 s17, 0xbfe77f67
	v_fma_f64 v[59:60], v[14:15], s[18:19], v[49:50]
	s_mov_b32 s19, 0xbfd5d0dc
	v_fma_f64 v[47:48], v[55:56], s[14:15], -v[47:48]
	v_fma_f64 v[49:50], v[57:58], s[14:15], -v[49:50]
	v_fma_f64 v[51:52], v[51:52], s[8:9], v[16:17]
	v_fma_f64 v[53:54], v[53:54], s[8:9], v[18:19]
	v_fma_f64 v[0:1], v[12:13], s[18:19], -v[0:1]
	v_fma_f64 v[2:3], v[14:15], s[18:19], -v[2:3]
	;; [unrolled: 1-line block ×4, first 2 shown]
	v_fma_f64 v[8:9], v[8:9], s[6:7], v[24:25]
	v_fma_f64 v[10:11], v[10:11], s[6:7], v[26:27]
	s_mov_b32 s6, 0x37c3f68c
	s_mov_b32 s7, 0x3fdc38aa
	v_fma_f64 v[22:23], v[4:5], s[6:7], v[20:21]
	v_fma_f64 v[20:21], v[6:7], s[6:7], v[59:60]
	;; [unrolled: 1-line block ×4, first 2 shown]
	v_add_f64 v[55:56], v[36:37], v[51:52]
	v_add_f64 v[57:58], v[38:39], v[53:54]
	v_fma_f64 v[36:37], v[4:5], s[6:7], v[0:1]
	v_fma_f64 v[24:25], v[6:7], s[6:7], v[2:3]
	v_add_f64 v[26:27], v[12:13], v[51:52]
	v_add_f64 v[38:39], v[14:15], v[53:54]
	;; [unrolled: 1-line block ×4, first 2 shown]
	v_add_f64 v[8:9], v[55:56], -v[49:50]
	v_add_f64 v[10:11], v[47:48], v[57:58]
	v_add_f64 v[4:5], v[49:50], v[55:56]
	v_add_f64 v[6:7], v[57:58], -v[47:48]
	v_add_f64 v[12:13], v[26:27], -v[24:25]
	v_add_f64 v[14:15], v[36:37], v[38:39]
	v_add_f64 v[0:1], v[32:33], -v[20:21]
	v_add_f64 v[2:3], v[22:23], v[34:35]
	s_and_saveexec_b32 s0, vcc_lo
	s_cbranch_execz .LBB0_13
; %bb.12:
	v_add_f64 v[22:23], v[34:35], -v[22:23]
	v_add_f64 v[20:21], v[20:21], v[32:33]
	v_add_f64 v[36:37], v[38:39], -v[36:37]
	v_add_f64 v[34:35], v[24:25], v[26:27]
	v_mad_u32_u24 v24, 0x70, v43, 0
	ds_write_b128 v24, v[16:19]
	ds_write_b128 v24, v[8:11] offset:48
	ds_write_b128 v24, v[4:7] offset:64
	;; [unrolled: 1-line block ×6, first 2 shown]
.LBB0_13:
	s_or_b32 exec_lo, exec_lo, s0
	v_lshl_add_u32 v34, v43, 4, 0
	s_waitcnt lgkmcnt(0)
	s_barrier
	buffer_gl0_inv
	v_cmp_gt_u32_e64 s0, 0x62, v43
	ds_read_b128 v[16:19], v34
	ds_read_b128 v[20:23], v34 offset:3920
	ds_read_b128 v[24:27], v34 offset:7840
	s_and_saveexec_b32 s6, s0
	s_cbranch_execz .LBB0_15
; %bb.14:
	ds_read_b128 v[8:11], v34 offset:2352
	ds_read_b128 v[4:7], v34 offset:6272
	;; [unrolled: 1-line block ×3, first 2 shown]
.LBB0_15:
	s_or_b32 exec_lo, exec_lo, s6
	v_and_b32_e32 v36, 0xff, v43
	v_add_nc_u32_e32 v37, 0x93, v43
	v_mov_b32_e32 v32, 0x2493
	s_mov_b32 s6, 0xe8584caa
	s_mov_b32 s7, 0x3febb67a
	v_mul_lo_u16 v33, v36, 37
	s_mov_b32 s9, 0xbfebb67a
	v_mul_u32_u24_sdwa v32, v37, v32 dst_sel:DWORD dst_unused:UNUSED_PAD src0_sel:WORD_0 src1_sel:DWORD
	s_mov_b32 s8, s6
	v_lshrrev_b16 v33, 8, v33
	v_lshrrev_b32_e32 v32, 16, v32
	v_sub_nc_u16 v35, v43, v33
	v_sub_nc_u16 v38, v37, v32
	v_lshrrev_b16 v35, 1, v35
	v_lshrrev_b16 v38, 1, v38
	v_and_b32_e32 v35, 0x7f, v35
	v_add_nc_u16 v32, v38, v32
	v_add_nc_u16 v33, v35, v33
	v_mov_b32_e32 v35, 5
	v_lshrrev_b16 v32, 2, v32
	v_lshrrev_b16 v39, 2, v33
	v_mul_lo_u16 v32, v32, 7
	v_mul_lo_u16 v33, v39, 7
	v_sub_nc_u16 v38, v37, v32
	v_sub_nc_u16 v69, v43, v33
	v_lshlrev_b32_sdwa v32, v35, v38 dst_sel:DWORD dst_unused:UNUSED_PAD src0_sel:DWORD src1_sel:WORD_0
	v_lshlrev_b32_sdwa v33, v35, v69 dst_sel:DWORD dst_unused:UNUSED_PAD src0_sel:DWORD src1_sel:BYTE_0
	v_mov_b32_e32 v35, 4
	s_clause 0x3
	global_load_dwordx4 v[47:50], v32, s[12:13]
	global_load_dwordx4 v[51:54], v32, s[12:13] offset:16
	global_load_dwordx4 v[55:58], v33, s[12:13]
	global_load_dwordx4 v[59:62], v33, s[12:13] offset:16
	s_load_dwordx2 s[4:5], s[4:5], 0x0
	s_waitcnt vmcnt(0) lgkmcnt(0)
	s_barrier
	buffer_gl0_inv
	v_mul_f64 v[32:33], v[6:7], v[49:50]
	v_mul_f64 v[63:64], v[14:15], v[53:54]
	;; [unrolled: 1-line block ×8, first 2 shown]
	v_fma_f64 v[32:33], v[4:5], v[47:48], -v[32:33]
	v_fma_f64 v[12:13], v[12:13], v[51:52], -v[63:64]
	v_fma_f64 v[4:5], v[20:21], v[55:56], -v[65:66]
	v_fma_f64 v[63:64], v[24:25], v[59:60], -v[67:68]
	v_fma_f64 v[22:23], v[22:23], v[55:56], v[57:58]
	v_fma_f64 v[26:27], v[26:27], v[59:60], v[61:62]
	;; [unrolled: 1-line block ×4, first 2 shown]
	v_add_f64 v[6:7], v[32:33], v[12:13]
	v_add_f64 v[53:54], v[16:17], v[4:5]
	;; [unrolled: 1-line block ×5, first 2 shown]
	v_add_f64 v[55:56], v[22:23], -v[26:27]
	v_add_f64 v[51:52], v[20:21], v[14:15]
	v_add_f64 v[24:25], v[20:21], -v[14:15]
	v_add_f64 v[59:60], v[4:5], -v[63:64]
	v_fma_f64 v[22:23], v[6:7], -0.5, v[8:9]
	v_fma_f64 v[6:7], v[47:48], -0.5, v[16:17]
	v_add_f64 v[47:48], v[53:54], v[63:64]
	v_fma_f64 v[61:62], v[49:50], -0.5, v[18:19]
	v_add_f64 v[18:19], v[32:33], -v[12:13]
	v_fma_f64 v[16:17], v[51:52], -0.5, v[10:11]
	v_add_f64 v[49:50], v[57:58], v[26:27]
	v_mov_b32_e32 v26, 0x150
	v_mul_u32_u24_sdwa v27, v39, v26 dst_sel:DWORD dst_unused:UNUSED_PAD src0_sel:WORD_0 src1_sel:DWORD
	v_lshlrev_b32_sdwa v39, v35, v69 dst_sel:DWORD dst_unused:UNUSED_PAD src0_sel:DWORD src1_sel:BYTE_0
	v_add3_u32 v27, 0, v27, v39
	v_fma_f64 v[4:5], v[24:25], s[8:9], v[22:23]
	v_fma_f64 v[51:52], v[55:56], s[6:7], v[6:7]
	;; [unrolled: 1-line block ×6, first 2 shown]
	ds_write_b128 v27, v[47:50]
	ds_write_b128 v27, v[51:54] offset:112
	ds_write_b128 v27, v[55:58] offset:224
	s_and_saveexec_b32 s8, s0
	s_cbranch_execz .LBB0_17
; %bb.16:
	v_and_b32_e32 v27, 0xff, v37
	v_add_f64 v[20:21], v[10:11], v[20:21]
	v_add_f64 v[8:9], v[8:9], v[32:33]
	v_mul_f64 v[18:19], v[18:19], s[6:7]
	v_mul_f64 v[24:25], v[24:25], s[6:7]
	v_mul_lo_u16 v10, v27, 37
	v_lshrrev_b16 v27, 8, v10
	v_sub_nc_u16 v10, v37, v27
	v_lshrrev_b16 v10, 1, v10
	v_add_f64 v[14:15], v[20:21], v[14:15]
	v_add_f64 v[12:13], v[8:9], v[12:13]
	v_and_b32_e32 v32, 0x7f, v10
	v_add_f64 v[10:11], v[16:17], -v[18:19]
	v_add_f64 v[8:9], v[24:25], v[22:23]
	v_lshlrev_b32_sdwa v17, v35, v38 dst_sel:DWORD dst_unused:UNUSED_PAD src0_sel:DWORD src1_sel:WORD_0
	v_add_nc_u16 v16, v32, v27
	v_lshrrev_b16 v16, 2, v16
	v_mul_u32_u24_sdwa v16, v16, v26 dst_sel:DWORD dst_unused:UNUSED_PAD src0_sel:WORD_0 src1_sel:DWORD
	v_add3_u32 v16, 0, v16, v17
	ds_write_b128 v16, v[12:15]
	ds_write_b128 v16, v[8:11] offset:112
	ds_write_b128 v16, v[4:7] offset:224
.LBB0_17:
	s_or_b32 exec_lo, exec_lo, s8
	v_mul_lo_u16 v8, 0x87, v36
	s_waitcnt lgkmcnt(0)
	s_barrier
	buffer_gl0_inv
	s_mov_b32 s6, 0x134454ff
	v_lshrrev_b16 v8, 8, v8
	s_mov_b32 s7, 0x3fee6f0e
	s_mov_b32 s9, 0xbfee6f0e
	;; [unrolled: 1-line block ×3, first 2 shown]
	v_sub_nc_u16 v9, v43, v8
	v_lshrrev_b16 v9, 1, v9
	v_and_b32_e32 v9, 0x7f, v9
	v_add_nc_u16 v8, v9, v8
	v_mov_b32_e32 v9, 6
	v_lshrrev_b16 v8, 4, v8
	v_and_b32_e32 v73, 15, v8
	v_mul_lo_u16 v8, v73, 21
	v_sub_nc_u16 v74, v43, v8
	v_lshlrev_b32_sdwa v20, v9, v74 dst_sel:DWORD dst_unused:UNUSED_PAD src0_sel:DWORD src1_sel:BYTE_0
	s_clause 0x3
	global_load_dwordx4 v[8:11], v20, s[12:13] offset:224
	global_load_dwordx4 v[12:15], v20, s[12:13] offset:240
	;; [unrolled: 1-line block ×4, first 2 shown]
	ds_read_b128 v[24:27], v34 offset:2352
	ds_read_b128 v[36:39], v34 offset:4704
	;; [unrolled: 1-line block ×4, first 2 shown]
	s_waitcnt vmcnt(3) lgkmcnt(3)
	v_mul_f64 v[32:33], v[26:27], v[10:11]
	s_waitcnt vmcnt(2) lgkmcnt(2)
	v_mul_f64 v[55:56], v[38:39], v[14:15]
	;; [unrolled: 2-line block ×3, first 2 shown]
	v_mul_f64 v[10:11], v[24:25], v[10:11]
	s_waitcnt vmcnt(0) lgkmcnt(0)
	v_mul_f64 v[59:60], v[53:54], v[22:23]
	v_mul_f64 v[14:15], v[36:37], v[14:15]
	;; [unrolled: 1-line block ×4, first 2 shown]
	v_fma_f64 v[24:25], v[24:25], v[8:9], -v[32:33]
	v_fma_f64 v[32:33], v[36:37], v[12:13], -v[55:56]
	;; [unrolled: 1-line block ×3, first 2 shown]
	v_fma_f64 v[26:27], v[26:27], v[8:9], v[10:11]
	v_fma_f64 v[47:48], v[51:52], v[20:21], -v[59:60]
	v_fma_f64 v[12:13], v[38:39], v[12:13], v[14:15]
	v_fma_f64 v[14:15], v[49:50], v[16:17], v[18:19]
	;; [unrolled: 1-line block ×3, first 2 shown]
	ds_read_b128 v[8:11], v34
	s_waitcnt lgkmcnt(0)
	s_barrier
	buffer_gl0_inv
	v_add_f64 v[18:19], v[32:33], v[36:37]
	v_add_f64 v[20:21], v[24:25], v[47:48]
	v_add_f64 v[57:58], v[24:25], -v[47:48]
	v_add_f64 v[22:23], v[12:13], v[14:15]
	v_add_f64 v[38:39], v[26:27], v[16:17]
	;; [unrolled: 1-line block ×3, first 2 shown]
	v_add_f64 v[51:52], v[26:27], -v[16:17]
	v_add_f64 v[53:54], v[12:13], -v[14:15]
	v_add_f64 v[55:56], v[10:11], v[26:27]
	v_add_f64 v[59:60], v[47:48], -v[36:37]
	v_add_f64 v[61:62], v[36:37], -v[47:48]
	;; [unrolled: 1-line block ×6, first 2 shown]
	v_fma_f64 v[18:19], v[18:19], -0.5, v[8:9]
	v_fma_f64 v[8:9], v[20:21], -0.5, v[8:9]
	v_add_f64 v[20:21], v[32:33], -v[36:37]
	v_fma_f64 v[22:23], v[22:23], -0.5, v[10:11]
	v_fma_f64 v[10:11], v[38:39], -0.5, v[10:11]
	v_add_f64 v[38:39], v[24:25], -v[32:33]
	v_add_f64 v[24:25], v[32:33], -v[24:25]
	v_add_f64 v[32:33], v[49:50], v[32:33]
	v_add_f64 v[12:13], v[55:56], v[12:13]
	v_fma_f64 v[49:50], v[51:52], s[6:7], v[18:19]
	v_fma_f64 v[18:19], v[51:52], s[8:9], v[18:19]
	;; [unrolled: 1-line block ×8, first 2 shown]
	s_mov_b32 s6, 0x4755a5e
	s_mov_b32 s7, 0x3fe2cf23
	;; [unrolled: 1-line block ×4, first 2 shown]
	v_add_f64 v[38:39], v[38:39], v[59:60]
	v_add_f64 v[59:60], v[24:25], v[61:62]
	v_add_f64 v[61:62], v[63:64], v[65:66]
	v_add_f64 v[63:64], v[26:27], v[67:68]
	v_add_f64 v[24:25], v[32:33], v[36:37]
	v_add_f64 v[12:13], v[12:13], v[14:15]
	v_fma_f64 v[14:15], v[53:54], s[6:7], v[49:50]
	v_fma_f64 v[18:19], v[53:54], s[8:9], v[18:19]
	;; [unrolled: 1-line block ×8, first 2 shown]
	s_mov_b32 s6, 0x372fe950
	s_mov_b32 s7, 0x3fd3c6ef
	v_add_f64 v[8:9], v[24:25], v[47:48]
	v_add_f64 v[10:11], v[12:13], v[16:17]
	v_fma_f64 v[20:21], v[38:39], s[6:7], v[14:15]
	v_fma_f64 v[16:17], v[38:39], s[6:7], v[18:19]
	;; [unrolled: 1-line block ×8, first 2 shown]
	v_mov_b32_e32 v32, 0x690
	v_lshlrev_b32_sdwa v33, v35, v74 dst_sel:DWORD dst_unused:UNUSED_PAD src0_sel:DWORD src1_sel:BYTE_0
	v_mul_u32_u24_sdwa v32, v73, v32 dst_sel:DWORD dst_unused:UNUSED_PAD src0_sel:WORD_0 src1_sel:DWORD
	v_add3_u32 v32, 0, v32, v33
	ds_write_b128 v32, v[8:11]
	ds_write_b128 v32, v[20:23] offset:336
	ds_write_b128 v32, v[24:27] offset:672
	;; [unrolled: 1-line block ×4, first 2 shown]
	s_waitcnt lgkmcnt(0)
	s_barrier
	buffer_gl0_inv
	s_and_saveexec_b32 s0, vcc_lo
	s_cbranch_execnz .LBB0_20
; %bb.18:
	s_or_b32 exec_lo, exec_lo, s0
	s_and_saveexec_b32 s0, s1
	s_cbranch_execnz .LBB0_21
.LBB0_19:
	s_endpgm
.LBB0_20:
	ds_read_b128 v[8:11], v34
	ds_read_b128 v[20:23], v34 offset:1680
	ds_read_b128 v[24:27], v34 offset:3360
	;; [unrolled: 1-line block ×6, first 2 shown]
	s_or_b32 exec_lo, exec_lo, s0
	s_and_saveexec_b32 s0, s1
	s_cbranch_execz .LBB0_19
.LBB0_21:
	v_mul_u32_u24_e32 v32, 6, v43
	s_mov_b32 s14, 0x37e14327
	s_mov_b32 s15, 0x3fe948f6
	;; [unrolled: 1-line block ×4, first 2 shown]
	v_lshlrev_b32_e32 v59, 4, v32
	s_mov_b32 s17, 0x3febfeb5
	s_mov_b32 s7, 0x3fac98ee
	;; [unrolled: 1-line block ×4, first 2 shown]
	s_clause 0x5
	global_load_dwordx4 v[32:35], v59, s[12:13] offset:1584
	global_load_dwordx4 v[36:39], v59, s[12:13] offset:1632
	global_load_dwordx4 v[47:50], v59, s[12:13] offset:1568
	global_load_dwordx4 v[51:54], v59, s[12:13] offset:1648
	global_load_dwordx4 v[55:58], v59, s[12:13] offset:1616
	global_load_dwordx4 v[59:62], v59, s[12:13] offset:1600
	s_mov_b32 s12, 0xe976ee23
	s_mov_b32 s13, 0xbfe11646
	;; [unrolled: 1-line block ×4, first 2 shown]
	v_lshlrev_b64 v[28:29], 4, v[28:29]
	s_mov_b32 s0, 0x37c3f68c
	s_mov_b32 s1, 0x3fdc38aa
	s_waitcnt vmcnt(5) lgkmcnt(4)
	v_mul_f64 v[63:64], v[26:27], v[34:35]
	v_mul_f64 v[34:35], v[24:25], v[34:35]
	s_waitcnt vmcnt(4) lgkmcnt(1)
	v_mul_f64 v[65:66], v[6:7], v[38:39]
	v_mul_f64 v[38:39], v[4:5], v[38:39]
	s_waitcnt vmcnt(3)
	v_mul_f64 v[67:68], v[22:23], v[49:50]
	v_mul_f64 v[49:50], v[20:21], v[49:50]
	v_fma_f64 v[24:25], v[24:25], v[32:33], -v[63:64]
	v_fma_f64 v[26:27], v[26:27], v[32:33], v[34:35]
	s_waitcnt vmcnt(2) lgkmcnt(0)
	v_mul_f64 v[32:33], v[0:1], v[53:54]
	v_mul_f64 v[34:35], v[2:3], v[53:54]
	s_waitcnt vmcnt(1)
	v_mul_f64 v[53:54], v[18:19], v[57:58]
	v_fma_f64 v[4:5], v[4:5], v[36:37], -v[65:66]
	v_fma_f64 v[6:7], v[6:7], v[36:37], v[38:39]
	s_waitcnt vmcnt(0)
	v_mul_f64 v[36:37], v[14:15], v[61:62]
	v_mul_f64 v[38:39], v[12:13], v[61:62]
	;; [unrolled: 1-line block ×3, first 2 shown]
	v_fma_f64 v[22:23], v[22:23], v[47:48], v[49:50]
	v_fma_f64 v[20:21], v[20:21], v[47:48], -v[67:68]
	v_mad_u64_u32 v[49:50], null, s2, v45, 0
	v_mul_lo_u32 v63, s5, v30
	v_mul_lo_u32 v64, s4, v31
	v_mad_u64_u32 v[30:31], null, s4, v30, 0
	s_mov_b32 s5, 0x3fd5d0dc
	s_mov_b32 s4, 0xb247c609
	v_add3_u32 v31, v31, v64, v63
	v_fma_f64 v[2:3], v[2:3], v[51:52], v[32:33]
	v_fma_f64 v[0:1], v[0:1], v[51:52], -v[34:35]
	v_fma_f64 v[16:17], v[16:17], v[55:56], -v[53:54]
	v_add_f64 v[34:35], v[26:27], v[6:7]
	v_fma_f64 v[12:13], v[12:13], v[59:60], -v[36:37]
	v_fma_f64 v[14:15], v[14:15], v[59:60], v[38:39]
	v_fma_f64 v[18:19], v[18:19], v[55:56], v[57:58]
	v_add_f64 v[38:39], v[24:25], v[4:5]
	v_add_f64 v[4:5], v[24:25], -v[4:5]
	v_add_f64 v[6:7], v[26:27], -v[6:7]
	v_mad_u64_u32 v[32:33], null, s2, v43, 0
	v_mad_u64_u32 v[51:52], null, s2, v44, 0
	;; [unrolled: 1-line block ×5, first 2 shown]
	v_lshlrev_b64 v[30:31], 4, v[30:31]
	v_mad_u64_u32 v[57:58], null, s2, v41, 0
	v_add_f64 v[36:37], v[22:23], v[2:3]
	v_add_f64 v[47:48], v[20:21], v[0:1]
	v_add_f64 v[20:21], v[20:21], -v[0:1]
	v_add_f64 v[61:62], v[16:17], -v[12:13]
	v_add_f64 v[12:13], v[16:17], v[12:13]
	v_add_f64 v[24:25], v[18:19], v[14:15]
	v_add_f64 v[14:15], v[18:19], -v[14:15]
	v_add_f64 v[22:23], v[22:23], -v[2:3]
	v_mov_b32_e32 v16, v33
	v_mov_b32_e32 v17, v50
	;; [unrolled: 1-line block ×6, first 2 shown]
	v_mad_u64_u32 v[63:64], null, s3, v43, v[16:17]
	v_mad_u64_u32 v[43:44], null, s3, v44, v[0:1]
	;; [unrolled: 1-line block ×4, first 2 shown]
	v_add_f64 v[18:19], v[34:35], v[36:37]
	v_add_f64 v[26:27], v[38:39], v[47:48]
	v_add_f64 v[67:68], v[4:5], -v[20:21]
	v_mov_b32_e32 v52, v43
	v_mov_b32_e32 v33, v63
	;; [unrolled: 1-line block ×3, first 2 shown]
	v_add_f64 v[64:65], v[14:15], -v[6:7]
	v_mov_b32_e32 v58, v41
	v_mad_u64_u32 v[16:17], null, s3, v45, v[17:18]
	v_add_f64 v[17:18], v[24:25], v[18:19]
	v_mov_b32_e32 v19, v60
	v_mad_u64_u32 v[44:45], null, s3, v46, v[1:2]
	v_add_f64 v[0:1], v[61:62], -v[4:5]
	v_add_f64 v[2:3], v[36:37], -v[24:25]
	;; [unrolled: 1-line block ×3, first 2 shown]
	v_add_f64 v[26:27], v[12:13], v[26:27]
	v_mad_u64_u32 v[69:70], null, s3, v40, v[19:20]
	v_add_f64 v[70:71], v[6:7], -v[22:23]
	v_add_f64 v[24:25], v[24:25], -v[34:35]
	;; [unrolled: 1-line block ×3, first 2 shown]
	v_add_f64 v[4:5], v[61:62], v[4:5]
	v_add_f64 v[60:61], v[20:21], -v[61:62]
	v_add_f64 v[6:7], v[14:15], v[6:7]
	v_add_f64 v[14:15], v[22:23], -v[14:15]
	v_mul_f64 v[64:65], v[64:65], s[12:13]
	v_add_co_u32 v40, vcc_lo, s10, v30
	v_add_f64 v[34:35], v[34:35], -v[36:37]
	v_add_f64 v[36:37], v[38:39], -v[47:48]
	v_add_co_ci_u32_e32 v48, vcc_lo, s11, v31, vcc_lo
	v_mov_b32_e32 v50, v16
	v_mov_b32_e32 v54, v44
	v_mul_f64 v[72:73], v[0:1], s[12:13]
	v_mul_f64 v[74:75], v[2:3], s[14:15]
	;; [unrolled: 1-line block ×3, first 2 shown]
	v_add_f64 v[2:3], v[10:11], v[17:18]
	v_add_f64 v[0:1], v[8:9], v[26:27]
	v_mul_f64 v[8:9], v[67:68], s[16:17]
	v_mul_f64 v[30:31], v[70:71], s[16:17]
	;; [unrolled: 1-line block ×4, first 2 shown]
	v_add_f64 v[4:5], v[4:5], v[20:21]
	v_add_f64 v[6:7], v[6:7], v[22:23]
	v_fma_f64 v[19:20], v[60:61], s[4:5], v[72:73]
	v_fma_f64 v[21:22], v[24:25], s[6:7], v[74:75]
	;; [unrolled: 1-line block ×3, first 2 shown]
	s_mov_b32 s5, 0xbfd5d0dc
	v_fma_f64 v[12:13], v[12:13], s[6:7], v[45:46]
	v_fma_f64 v[42:43], v[34:35], s[18:19], -v[74:75]
	v_fma_f64 v[44:45], v[36:37], s[18:19], -v[45:46]
	s_mov_b32 s19, 0x3fe77f67
	v_fma_f64 v[16:17], v[17:18], s[8:9], v[2:3]
	v_fma_f64 v[25:26], v[26:27], s[8:9], v[0:1]
	v_fma_f64 v[8:9], v[60:61], s[4:5], -v[8:9]
	v_fma_f64 v[14:15], v[14:15], s[4:5], -v[30:31]
	;; [unrolled: 1-line block ×6, first 2 shown]
	v_add_co_u32 v61, vcc_lo, v40, v28
	v_add_co_ci_u32_e32 v62, vcc_lo, v48, v29, vcc_lo
	v_lshlrev_b64 v[27:28], 4, v[32:33]
	v_lshlrev_b64 v[32:33], 4, v[49:50]
	;; [unrolled: 1-line block ×3, first 2 shown]
	v_fma_f64 v[48:49], v[4:5], s[0:1], v[19:20]
	v_fma_f64 v[50:51], v[6:7], s[0:1], v[23:24]
	v_lshlrev_b64 v[38:39], 4, v[53:54]
	v_add_co_u32 v54, vcc_lo, v61, v27
	v_lshlrev_b64 v[40:41], 4, v[55:56]
	v_add_co_ci_u32_e32 v55, vcc_lo, v62, v28, vcc_lo
	v_add_f64 v[20:21], v[21:22], v[16:17]
	v_add_f64 v[12:13], v[12:13], v[25:26]
	v_fma_f64 v[8:9], v[4:5], s[0:1], v[8:9]
	v_add_f64 v[22:23], v[42:43], v[16:17]
	v_fma_f64 v[52:53], v[6:7], s[0:1], v[14:15]
	;; [unrolled: 2-line block ×4, first 2 shown]
	v_add_f64 v[29:30], v[30:31], v[25:26]
	v_add_co_u32 v31, vcc_lo, v61, v32
	v_add_co_ci_u32_e32 v32, vcc_lo, v62, v33, vcc_lo
	v_add_co_u32 v36, vcc_lo, v61, v36
	v_mov_b32_e32 v60, v69
	v_add_co_ci_u32_e32 v37, vcc_lo, v62, v37, vcc_lo
	v_lshlrev_b64 v[42:43], 4, v[57:58]
	v_add_co_u32 v28, vcc_lo, v61, v38
	v_add_f64 v[26:27], v[20:21], -v[48:49]
	v_add_f64 v[24:25], v[50:51], v[12:13]
	v_add_f64 v[6:7], v[48:49], v[20:21]
	;; [unrolled: 1-line block ×3, first 2 shown]
	v_add_f64 v[22:23], v[22:23], -v[8:9]
	v_add_f64 v[20:21], v[52:53], v[44:45]
	v_add_f64 v[4:5], v[12:13], -v[50:51]
	v_add_f64 v[14:15], v[16:17], -v[18:19]
	v_add_f64 v[18:19], v[18:19], v[16:17]
	v_add_f64 v[16:17], v[29:30], -v[34:35]
	v_add_f64 v[12:13], v[34:35], v[29:30]
	v_add_f64 v[8:9], v[44:45], -v[52:53]
	v_add_co_ci_u32_e32 v29, vcc_lo, v62, v39, vcc_lo
	v_lshlrev_b64 v[46:47], 4, v[59:60]
	v_add_co_u32 v33, vcc_lo, v61, v40
	v_add_co_ci_u32_e32 v34, vcc_lo, v62, v41, vcc_lo
	v_add_co_u32 v38, vcc_lo, v61, v42
	v_add_co_ci_u32_e32 v39, vcc_lo, v62, v43, vcc_lo
	;; [unrolled: 2-line block ×3, first 2 shown]
	global_store_dwordx4 v[54:55], v[0:3], off
	global_store_dwordx4 v[31:32], v[24:27], off
	;; [unrolled: 1-line block ×7, first 2 shown]
	s_endpgm
	.section	.rodata,"a",@progbits
	.p2align	6, 0x0
	.amdhsa_kernel fft_rtc_fwd_len735_factors_7_3_5_7_wgs_147_tpt_147_dp_op_CI_CI_sbrr_dirReg
		.amdhsa_group_segment_fixed_size 0
		.amdhsa_private_segment_fixed_size 0
		.amdhsa_kernarg_size 104
		.amdhsa_user_sgpr_count 6
		.amdhsa_user_sgpr_private_segment_buffer 1
		.amdhsa_user_sgpr_dispatch_ptr 0
		.amdhsa_user_sgpr_queue_ptr 0
		.amdhsa_user_sgpr_kernarg_segment_ptr 1
		.amdhsa_user_sgpr_dispatch_id 0
		.amdhsa_user_sgpr_flat_scratch_init 0
		.amdhsa_user_sgpr_private_segment_size 0
		.amdhsa_wavefront_size32 1
		.amdhsa_uses_dynamic_stack 0
		.amdhsa_system_sgpr_private_segment_wavefront_offset 0
		.amdhsa_system_sgpr_workgroup_id_x 1
		.amdhsa_system_sgpr_workgroup_id_y 0
		.amdhsa_system_sgpr_workgroup_id_z 0
		.amdhsa_system_sgpr_workgroup_info 0
		.amdhsa_system_vgpr_workitem_id 0
		.amdhsa_next_free_vgpr 76
		.amdhsa_next_free_sgpr 31
		.amdhsa_reserve_vcc 1
		.amdhsa_reserve_flat_scratch 0
		.amdhsa_float_round_mode_32 0
		.amdhsa_float_round_mode_16_64 0
		.amdhsa_float_denorm_mode_32 3
		.amdhsa_float_denorm_mode_16_64 3
		.amdhsa_dx10_clamp 1
		.amdhsa_ieee_mode 1
		.amdhsa_fp16_overflow 0
		.amdhsa_workgroup_processor_mode 1
		.amdhsa_memory_ordered 1
		.amdhsa_forward_progress 0
		.amdhsa_shared_vgpr_count 0
		.amdhsa_exception_fp_ieee_invalid_op 0
		.amdhsa_exception_fp_denorm_src 0
		.amdhsa_exception_fp_ieee_div_zero 0
		.amdhsa_exception_fp_ieee_overflow 0
		.amdhsa_exception_fp_ieee_underflow 0
		.amdhsa_exception_fp_ieee_inexact 0
		.amdhsa_exception_int_div_zero 0
	.end_amdhsa_kernel
	.text
.Lfunc_end0:
	.size	fft_rtc_fwd_len735_factors_7_3_5_7_wgs_147_tpt_147_dp_op_CI_CI_sbrr_dirReg, .Lfunc_end0-fft_rtc_fwd_len735_factors_7_3_5_7_wgs_147_tpt_147_dp_op_CI_CI_sbrr_dirReg
                                        ; -- End function
	.section	.AMDGPU.csdata,"",@progbits
; Kernel info:
; codeLenInByte = 6048
; NumSgprs: 33
; NumVgprs: 76
; ScratchSize: 0
; MemoryBound: 1
; FloatMode: 240
; IeeeMode: 1
; LDSByteSize: 0 bytes/workgroup (compile time only)
; SGPRBlocks: 4
; VGPRBlocks: 9
; NumSGPRsForWavesPerEU: 33
; NumVGPRsForWavesPerEU: 76
; Occupancy: 12
; WaveLimiterHint : 1
; COMPUTE_PGM_RSRC2:SCRATCH_EN: 0
; COMPUTE_PGM_RSRC2:USER_SGPR: 6
; COMPUTE_PGM_RSRC2:TRAP_HANDLER: 0
; COMPUTE_PGM_RSRC2:TGID_X_EN: 1
; COMPUTE_PGM_RSRC2:TGID_Y_EN: 0
; COMPUTE_PGM_RSRC2:TGID_Z_EN: 0
; COMPUTE_PGM_RSRC2:TIDIG_COMP_CNT: 0
	.text
	.p2alignl 6, 3214868480
	.fill 48, 4, 3214868480
	.type	__hip_cuid_fbc520f2fb69c030,@object ; @__hip_cuid_fbc520f2fb69c030
	.section	.bss,"aw",@nobits
	.globl	__hip_cuid_fbc520f2fb69c030
__hip_cuid_fbc520f2fb69c030:
	.byte	0                               ; 0x0
	.size	__hip_cuid_fbc520f2fb69c030, 1

	.ident	"AMD clang version 19.0.0git (https://github.com/RadeonOpenCompute/llvm-project roc-6.4.0 25133 c7fe45cf4b819c5991fe208aaa96edf142730f1d)"
	.section	".note.GNU-stack","",@progbits
	.addrsig
	.addrsig_sym __hip_cuid_fbc520f2fb69c030
	.amdgpu_metadata
---
amdhsa.kernels:
  - .args:
      - .actual_access:  read_only
        .address_space:  global
        .offset:         0
        .size:           8
        .value_kind:     global_buffer
      - .offset:         8
        .size:           8
        .value_kind:     by_value
      - .actual_access:  read_only
        .address_space:  global
        .offset:         16
        .size:           8
        .value_kind:     global_buffer
      - .actual_access:  read_only
        .address_space:  global
        .offset:         24
        .size:           8
        .value_kind:     global_buffer
      - .actual_access:  read_only
        .address_space:  global
        .offset:         32
        .size:           8
        .value_kind:     global_buffer
      - .offset:         40
        .size:           8
        .value_kind:     by_value
      - .actual_access:  read_only
        .address_space:  global
        .offset:         48
        .size:           8
        .value_kind:     global_buffer
      - .actual_access:  read_only
        .address_space:  global
        .offset:         56
        .size:           8
        .value_kind:     global_buffer
      - .offset:         64
        .size:           4
        .value_kind:     by_value
      - .actual_access:  read_only
        .address_space:  global
        .offset:         72
        .size:           8
        .value_kind:     global_buffer
      - .actual_access:  read_only
        .address_space:  global
        .offset:         80
        .size:           8
        .value_kind:     global_buffer
      - .actual_access:  read_only
        .address_space:  global
        .offset:         88
        .size:           8
        .value_kind:     global_buffer
      - .actual_access:  write_only
        .address_space:  global
        .offset:         96
        .size:           8
        .value_kind:     global_buffer
    .group_segment_fixed_size: 0
    .kernarg_segment_align: 8
    .kernarg_segment_size: 104
    .language:       OpenCL C
    .language_version:
      - 2
      - 0
    .max_flat_workgroup_size: 147
    .name:           fft_rtc_fwd_len735_factors_7_3_5_7_wgs_147_tpt_147_dp_op_CI_CI_sbrr_dirReg
    .private_segment_fixed_size: 0
    .sgpr_count:     33
    .sgpr_spill_count: 0
    .symbol:         fft_rtc_fwd_len735_factors_7_3_5_7_wgs_147_tpt_147_dp_op_CI_CI_sbrr_dirReg.kd
    .uniform_work_group_size: 1
    .uses_dynamic_stack: false
    .vgpr_count:     76
    .vgpr_spill_count: 0
    .wavefront_size: 32
    .workgroup_processor_mode: 1
amdhsa.target:   amdgcn-amd-amdhsa--gfx1030
amdhsa.version:
  - 1
  - 2
...

	.end_amdgpu_metadata
